;; amdgpu-corpus repo=ROCm/rocFFT kind=compiled arch=gfx950 opt=O3
	.text
	.amdgcn_target "amdgcn-amd-amdhsa--gfx950"
	.amdhsa_code_object_version 6
	.protected	bluestein_single_fwd_len625_dim1_sp_op_CI_CI ; -- Begin function bluestein_single_fwd_len625_dim1_sp_op_CI_CI
	.globl	bluestein_single_fwd_len625_dim1_sp_op_CI_CI
	.p2align	8
	.type	bluestein_single_fwd_len625_dim1_sp_op_CI_CI,@function
bluestein_single_fwd_len625_dim1_sp_op_CI_CI: ; @bluestein_single_fwd_len625_dim1_sp_op_CI_CI
; %bb.0:
	s_load_dwordx4 s[16:19], s[0:1], 0x28
	v_mul_u32_u24_e32 v1, 0x20d, v0
	v_add_u32_sdwa v24, s2, v1 dst_sel:DWORD dst_unused:UNUSED_PAD src0_sel:DWORD src1_sel:WORD_1
	v_mov_b32_e32 v25, 0
	s_waitcnt lgkmcnt(0)
	v_cmp_gt_u64_e32 vcc, s[16:17], v[24:25]
	s_and_saveexec_b64 s[2:3], vcc
	s_cbranch_execz .LBB0_2
; %bb.1:
	s_load_dwordx4 s[12:15], s[0:1], 0x18
	s_load_dwordx4 s[8:11], s[0:1], 0x0
	v_mov_b32_e32 v2, s18
	v_mov_b32_e32 v3, s19
	s_load_dwordx2 s[0:1], s[0:1], 0x38
	s_waitcnt lgkmcnt(0)
	s_load_dwordx4 s[4:7], s[14:15], 0x0
	s_waitcnt lgkmcnt(0)
	v_mad_u64_u32 v[26:27], s[2:3], s6, v24, 0
	s_load_dwordx4 s[12:15], s[12:13], 0x0
	v_mov_b32_e32 v6, v27
	v_mad_u64_u32 v[34:35], s[2:3], s7, v24, v[6:7]
	v_mov_b32_e32 v35, 0x3e8
	s_waitcnt lgkmcnt(0)
	v_mad_u64_u32 v[4:5], s[2:3], s14, v24, 0
	v_mov_b32_e32 v6, v5
	v_mad_u64_u32 v[6:7], s[2:3], s15, v24, v[6:7]
	s_movk_i32 s2, 0x7d
	s_nop 0
	v_mul_lo_u16_sdwa v1, v1, s2 dst_sel:DWORD dst_unused:UNUSED_PAD src0_sel:WORD_1 src1_sel:DWORD
	v_sub_u16_e32 v41, v0, v1
	v_mad_u64_u32 v[0:1], s[2:3], s12, v41, 0
	v_mov_b32_e32 v5, v6
	v_mov_b32_e32 v6, v1
	v_mad_u64_u32 v[6:7], s[2:3], s13, v41, v[6:7]
	v_mov_b32_e32 v1, v6
	v_lshl_add_u64 v[2:3], v[4:5], 3, v[2:3]
	v_lshl_add_u64 v[0:1], v[0:1], 3, v[2:3]
	global_load_dwordx2 v[2:3], v[0:1], off
	v_mad_u64_u32 v[0:1], s[2:3], s12, v35, v[0:1]
	s_mul_i32 s6, s13, 0x3e8
	v_lshlrev_b32_e32 v24, 3, v41
	v_add_u32_e32 v1, s6, v1
	global_load_dwordx2 v[38:39], v24, s[8:9]
	global_load_dwordx2 v[4:5], v[0:1], off
	global_load_dwordx2 v[36:37], v24, s[8:9] offset:1000
	v_mad_u64_u32 v[0:1], s[2:3], s12, v35, v[0:1]
	v_add_u32_e32 v1, s6, v1
	global_load_dwordx2 v[6:7], v[0:1], off
	global_load_dwordx2 v[32:33], v24, s[8:9] offset:2000
	v_mad_u64_u32 v[0:1], s[2:3], s12, v35, v[0:1]
	v_add_u32_e32 v1, s6, v1
	global_load_dwordx2 v[30:31], v24, s[8:9] offset:3000
	global_load_dwordx2 v[8:9], v[0:1], off
	v_mad_u64_u32 v[0:1], s[2:3], s12, v35, v[0:1]
	v_add_u32_e32 v1, s6, v1
	global_load_dwordx2 v[28:29], v24, s[8:9] offset:4000
	global_load_dwordx2 v[10:11], v[0:1], off
	v_mul_lo_u16_e32 v0, 5, v41
	v_lshlrev_b32_e32 v45, 3, v0
	v_add_u32_e32 v43, 0x400, v24
	s_mov_b32 s6, 0x3f737871
	s_mov_b32 s12, 0x3f167918
	;; [unrolled: 1-line block ×3, first 2 shown]
	v_lshlrev_b32_e32 v60, 5, v41
	s_waitcnt vmcnt(8)
	v_mul_f32_e32 v0, v3, v39
	v_mul_f32_e32 v1, v2, v39
	v_fmac_f32_e32 v0, v2, v38
	v_fma_f32 v1, v3, v38, -v1
	s_waitcnt vmcnt(6)
	v_mul_f32_e32 v2, v5, v37
	v_mul_f32_e32 v3, v4, v37
	v_fmac_f32_e32 v2, v4, v36
	v_fma_f32 v3, v5, v36, -v3
	ds_write2_b64 v24, v[0:1], v[2:3] offset1:125
	s_waitcnt vmcnt(4)
	v_mul_f32_e32 v0, v7, v33
	v_mul_f32_e32 v1, v6, v33
	s_waitcnt vmcnt(2)
	v_mul_f32_e32 v2, v9, v31
	v_mul_f32_e32 v3, v8, v31
	v_fmac_f32_e32 v0, v6, v32
	v_fma_f32 v1, v7, v32, -v1
	v_fmac_f32_e32 v2, v8, v30
	v_fma_f32 v3, v9, v30, -v3
	ds_write2_b64 v43, v[0:1], v[2:3] offset0:122 offset1:247
	s_waitcnt vmcnt(0)
	v_mul_f32_e32 v0, v11, v29
	v_mul_f32_e32 v1, v10, v29
	v_fmac_f32_e32 v0, v10, v28
	v_fma_f32 v1, v11, v28, -v1
	ds_write_b64 v24, v[0:1] offset:4000
	s_waitcnt lgkmcnt(0)
	s_barrier
	ds_read2_b64 v[0:3], v24 offset1:125
	ds_read2_b64 v[4:7], v43 offset0:122 offset1:247
	ds_read_b64 v[8:9], v24 offset:4000
	s_waitcnt lgkmcnt(0)
	s_barrier
	v_pk_add_f32 v[10:11], v[0:1], v[2:3]
	v_pk_add_f32 v[12:13], v[4:5], v[6:7]
	v_pk_add_f32 v[14:15], v[2:3], v[8:9] neg_lo:[0,1] neg_hi:[0,1]
	v_pk_add_f32 v[16:17], v[4:5], v[6:7] neg_lo:[0,1] neg_hi:[0,1]
	;; [unrolled: 1-line block ×3, first 2 shown]
	v_pk_add_f32 v[22:23], v[2:3], v[8:9]
	v_pk_add_f32 v[2:3], v[4:5], v[2:3] neg_lo:[0,1] neg_hi:[0,1]
	v_pk_add_f32 v[4:5], v[10:11], v[4:5]
	v_pk_fma_f32 v[10:11], v[12:13], 0.5, v[0:1] op_sel_hi:[1,0,1] neg_lo:[1,0,0] neg_hi:[1,0,0]
	v_pk_mul_f32 v[12:13], v[14:15], s[6:7] op_sel_hi:[1,0]
	v_pk_add_f32 v[20:21], v[8:9], v[6:7] neg_lo:[0,1] neg_hi:[0,1]
	v_pk_add_f32 v[46:47], v[6:7], v[8:9] neg_lo:[0,1] neg_hi:[0,1]
	v_pk_mul_f32 v[48:49], v[16:17], s[12:13] op_sel_hi:[1,0]
	v_pk_add_f32 v[4:5], v[4:5], v[6:7]
	v_pk_add_f32 v[6:7], v[10:11], v[12:13] op_sel:[0,1] op_sel_hi:[1,0]
	v_pk_add_f32 v[10:11], v[10:11], v[12:13] op_sel:[0,1] op_sel_hi:[1,0] neg_lo:[0,1] neg_hi:[0,1]
	v_pk_add_f32 v[4:5], v[4:5], v[8:9]
	v_pk_add_f32 v[8:9], v[10:11], v[48:49] op_sel:[0,1] op_sel_hi:[1,0] neg_lo:[0,1] neg_hi:[0,1]
	v_pk_add_f32 v[6:7], v[6:7], v[48:49] op_sel:[0,1] op_sel_hi:[1,0]
	v_pk_add_f32 v[18:19], v[18:19], v[20:21]
	v_mov_b32_e32 v10, v6
	v_mov_b32_e32 v11, v9
	v_pk_fma_f32 v[0:1], v[22:23], 0.5, v[0:1] op_sel_hi:[1,0,1] neg_lo:[1,0,0] neg_hi:[1,0,0]
	v_pk_mul_f32 v[16:17], v[16:17], s[6:7] op_sel_hi:[1,0]
	v_pk_fma_f32 v[10:11], v[18:19], s[2:3], v[10:11] op_sel_hi:[1,0,1]
	ds_write2_b64 v45, v[4:5], v[10:11] offset1:1
	v_pk_mul_f32 v[4:5], v[14:15], s[12:13] op_sel_hi:[1,0]
	v_pk_add_f32 v[10:11], v[0:1], v[16:17] op_sel:[0,1] op_sel_hi:[1,0] neg_lo:[0,1] neg_hi:[0,1]
	v_pk_add_f32 v[0:1], v[0:1], v[16:17] op_sel:[0,1] op_sel_hi:[1,0]
	v_pk_add_f32 v[2:3], v[2:3], v[46:47]
	v_pk_add_f32 v[0:1], v[0:1], v[4:5] op_sel:[0,1] op_sel_hi:[1,0] neg_lo:[0,1] neg_hi:[0,1]
	v_pk_add_f32 v[4:5], v[10:11], v[4:5] op_sel:[0,1] op_sel_hi:[1,0]
	v_mov_b32_e32 v11, v1
	v_mov_b32_e32 v10, v4
	;; [unrolled: 1-line block ×3, first 2 shown]
	v_pk_fma_f32 v[10:11], v[2:3], s[2:3], v[10:11] op_sel_hi:[1,0,1]
	v_pk_fma_f32 v[0:1], v[2:3], s[2:3], v[0:1] op_sel_hi:[1,0,1]
	v_mov_b32_e32 v9, v7
	ds_write2_b64 v45, v[10:11], v[0:1] offset0:2 offset1:3
	v_pk_fma_f32 v[0:1], v[18:19], s[2:3], v[8:9] op_sel_hi:[1,0,1]
	s_movk_i32 s3, 0xcd
	ds_write_b64 v45, v[0:1] offset:32
	v_mul_lo_u16_sdwa v0, v41, s3 dst_sel:DWORD dst_unused:UNUSED_PAD src0_sel:BYTE_0 src1_sel:DWORD
	v_lshrrev_b16_e32 v8, 10, v0
	v_mul_lo_u16_e32 v0, 5, v8
	v_sub_u16_e32 v0, v41, v0
	v_and_b32_e32 v9, 0xff, v0
	v_lshlrev_b32_e32 v10, 5, v9
	s_waitcnt lgkmcnt(0)
	s_barrier
	global_load_dwordx4 v[0:3], v10, s[10:11]
	global_load_dwordx4 v[4:7], v10, s[10:11] offset:16
	v_mul_u32_u24_e32 v8, 25, v8
	v_add_lshl_u32 v27, v8, v9, 3
	ds_read2_b64 v[8:11], v24 offset1:125
	ds_read2_b64 v[12:15], v43 offset0:122 offset1:247
	ds_read_b64 v[16:17], v24 offset:4000
	s_waitcnt lgkmcnt(0)
	s_barrier
	s_waitcnt vmcnt(1)
	v_pk_mul_f32 v[18:19], v[10:11], v[0:1] op_sel:[0,1]
	v_mov_b32_e32 v40, v3
	s_waitcnt vmcnt(0)
	v_pk_mul_f32 v[20:21], v[14:15], v[4:5] op_sel:[0,1]
	v_mov_b32_e32 v42, v7
	v_pk_fma_f32 v[22:23], v[10:11], v[0:1], v[18:19] op_sel:[0,0,1] op_sel_hi:[1,1,0] neg_lo:[0,0,1] neg_hi:[0,0,1]
	v_pk_fma_f32 v[10:11], v[10:11], v[0:1], v[18:19] op_sel:[0,0,1] op_sel_hi:[1,0,0]
	v_pk_mul_f32 v[18:19], v[12:13], v[40:41] op_sel_hi:[1,0]
	v_pk_fma_f32 v[46:47], v[14:15], v[4:5], v[20:21] op_sel:[0,0,1] op_sel_hi:[1,1,0] neg_lo:[0,0,1] neg_hi:[0,0,1]
	v_pk_fma_f32 v[14:15], v[14:15], v[4:5], v[20:21] op_sel:[0,0,1] op_sel_hi:[1,0,0]
	v_pk_mul_f32 v[20:21], v[16:17], v[42:43] op_sel_hi:[1,0]
	v_mov_b32_e32 v23, v11
	v_pk_fma_f32 v[10:11], v[12:13], v[2:3], v[18:19] op_sel:[0,0,1] op_sel_hi:[1,1,0] neg_lo:[0,0,1] neg_hi:[0,0,1]
	v_pk_fma_f32 v[12:13], v[12:13], v[2:3], v[18:19] op_sel:[0,0,1] op_sel_hi:[1,0,0]
	v_mov_b32_e32 v47, v15
	v_pk_fma_f32 v[14:15], v[16:17], v[6:7], v[20:21] op_sel:[0,0,1] op_sel_hi:[1,1,0] neg_lo:[0,0,1] neg_hi:[0,0,1]
	v_pk_fma_f32 v[16:17], v[16:17], v[6:7], v[20:21] op_sel:[0,0,1] op_sel_hi:[1,0,0]
	v_mov_b32_e32 v11, v13
	v_mov_b32_e32 v15, v17
	v_pk_add_f32 v[12:13], v[8:9], v[22:23]
	v_pk_add_f32 v[16:17], v[10:11], v[46:47]
	;; [unrolled: 1-line block ×3, first 2 shown]
	v_pk_add_f32 v[18:19], v[22:23], v[14:15] neg_lo:[0,1] neg_hi:[0,1]
	v_pk_add_f32 v[20:21], v[10:11], v[46:47] neg_lo:[0,1] neg_hi:[0,1]
	v_pk_add_f32 v[48:49], v[22:23], v[10:11] neg_lo:[0,1] neg_hi:[0,1]
	v_pk_add_f32 v[50:51], v[14:15], v[46:47] neg_lo:[0,1] neg_hi:[0,1]
	v_pk_add_f32 v[52:53], v[22:23], v[14:15]
	v_pk_add_f32 v[10:11], v[10:11], v[22:23] neg_lo:[0,1] neg_hi:[0,1]
	v_pk_add_f32 v[22:23], v[46:47], v[14:15] neg_lo:[0,1] neg_hi:[0,1]
	v_pk_add_f32 v[12:13], v[12:13], v[46:47]
	v_pk_fma_f32 v[16:17], v[16:17], 0.5, v[8:9] op_sel_hi:[1,0,1] neg_lo:[1,0,0] neg_hi:[1,0,0]
	v_pk_mul_f32 v[46:47], v[18:19], s[6:7] op_sel_hi:[1,0]
	v_pk_add_f32 v[48:49], v[48:49], v[50:51]
	v_pk_mul_f32 v[50:51], v[20:21], s[12:13] op_sel_hi:[1,0]
	v_pk_fma_f32 v[8:9], v[52:53], 0.5, v[8:9] op_sel_hi:[1,0,1] neg_lo:[1,0,0] neg_hi:[1,0,0]
	v_pk_mul_f32 v[20:21], v[20:21], s[6:7] op_sel_hi:[1,0]
	v_pk_add_f32 v[10:11], v[10:11], v[22:23]
	v_pk_mul_f32 v[18:19], v[18:19], s[12:13] op_sel_hi:[1,0]
	v_pk_add_f32 v[12:13], v[12:13], v[14:15]
	v_pk_add_f32 v[14:15], v[16:17], v[46:47] op_sel:[0,1] op_sel_hi:[1,0]
	v_pk_add_f32 v[16:17], v[16:17], v[46:47] op_sel:[0,1] op_sel_hi:[1,0] neg_lo:[0,1] neg_hi:[0,1]
	v_pk_add_f32 v[22:23], v[8:9], v[20:21] op_sel:[0,1] op_sel_hi:[1,0] neg_lo:[0,1] neg_hi:[0,1]
	v_pk_add_f32 v[8:9], v[8:9], v[20:21] op_sel:[0,1] op_sel_hi:[1,0]
	v_pk_add_f32 v[16:17], v[16:17], v[50:51] op_sel:[0,1] op_sel_hi:[1,0] neg_lo:[0,1] neg_hi:[0,1]
	v_pk_add_f32 v[14:15], v[14:15], v[50:51] op_sel:[0,1] op_sel_hi:[1,0]
	;; [unrolled: 2-line block ×3, first 2 shown]
	v_mov_b32_e32 v20, v14
	v_mov_b32_e32 v21, v17
	;; [unrolled: 1-line block ×5, first 2 shown]
	v_pk_fma_f32 v[18:19], v[48:49], s[2:3], v[20:21] op_sel_hi:[1,0,1]
	v_pk_fma_f32 v[8:9], v[10:11], s[2:3], v[8:9] op_sel_hi:[1,0,1]
	v_mov_b32_e32 v17, v15
	v_pk_fma_f32 v[20:21], v[10:11], s[2:3], v[22:23] op_sel_hi:[1,0,1]
	ds_write2_b64 v27, v[12:13], v[18:19] offset1:5
	ds_write2_b64 v27, v[20:21], v[8:9] offset0:10 offset1:15
	v_pk_fma_f32 v[8:9], v[48:49], s[2:3], v[16:17] op_sel_hi:[1,0,1]
	ds_write_b64 v27, v[8:9] offset:160
	v_mov_b32_e32 v8, 41
	v_mul_lo_u16_sdwa v8, v41, v8 dst_sel:DWORD dst_unused:UNUSED_PAD src0_sel:BYTE_0 src1_sel:DWORD
	v_lshrrev_b16_e32 v16, 10, v8
	v_mul_lo_u16_e32 v8, 25, v16
	v_sub_u16_e32 v8, v41, v8
	v_and_b32_e32 v17, 0xff, v8
	v_lshlrev_b32_e32 v18, 5, v17
	s_waitcnt lgkmcnt(0)
	s_barrier
	global_load_dwordx4 v[12:15], v18, s[10:11] offset:160
	global_load_dwordx4 v[8:11], v18, s[10:11] offset:176
	v_mul_u32_u24_e32 v16, 0x7d, v16
	v_add_lshl_u32 v47, v16, v17, 3
	ds_read2_b64 v[16:19], v43 offset0:122 offset1:247
	ds_read2_b64 v[20:23], v24 offset1:125
	ds_read_b64 v[48:49], v24 offset:4000
	s_waitcnt lgkmcnt(0)
	s_barrier
	s_waitcnt vmcnt(1)
	v_mov_b32_e32 v46, v15
	s_waitcnt vmcnt(0)
	v_pk_mul_f32 v[50:51], v[18:19], v[8:9] op_sel:[0,1]
	v_pk_mul_f32 v[52:53], v[22:23], v[12:13] op_sel:[0,1]
	v_mov_b32_e32 v44, v11
	v_pk_mul_f32 v[54:55], v[16:17], v[46:47] op_sel_hi:[1,0]
	v_pk_fma_f32 v[56:57], v[18:19], v[8:9], v[50:51] op_sel:[0,0,1] op_sel_hi:[1,1,0] neg_lo:[0,0,1] neg_hi:[0,0,1]
	v_pk_fma_f32 v[18:19], v[18:19], v[8:9], v[50:51] op_sel:[0,0,1] op_sel_hi:[1,0,0]
	v_pk_fma_f32 v[50:51], v[16:17], v[14:15], v[54:55] op_sel:[0,0,1] op_sel_hi:[1,1,0] neg_lo:[0,0,1] neg_hi:[0,0,1]
	v_pk_fma_f32 v[16:17], v[16:17], v[14:15], v[54:55] op_sel:[0,0,1] op_sel_hi:[1,0,0]
	v_pk_fma_f32 v[54:55], v[22:23], v[12:13], v[52:53] op_sel:[0,0,1] op_sel_hi:[1,1,0] neg_lo:[0,0,1] neg_hi:[0,0,1]
	v_pk_fma_f32 v[22:23], v[22:23], v[12:13], v[52:53] op_sel:[0,0,1] op_sel_hi:[1,0,0]
	v_pk_mul_f32 v[52:53], v[48:49], v[44:45] op_sel_hi:[1,0]
	v_mov_b32_e32 v55, v23
	v_mov_b32_e32 v57, v19
	v_pk_fma_f32 v[18:19], v[48:49], v[10:11], v[52:53] op_sel:[0,0,1] op_sel_hi:[1,1,0] neg_lo:[0,0,1] neg_hi:[0,0,1]
	v_pk_fma_f32 v[22:23], v[48:49], v[10:11], v[52:53] op_sel:[0,0,1] op_sel_hi:[1,0,0]
	v_mov_b32_e32 v51, v17
	v_mov_b32_e32 v19, v23
	v_pk_add_f32 v[22:23], v[50:51], v[56:57]
	v_pk_add_f32 v[48:49], v[54:55], v[18:19]
	;; [unrolled: 1-line block ×3, first 2 shown]
	v_pk_add_f32 v[52:53], v[54:55], v[50:51] neg_lo:[0,1] neg_hi:[0,1]
	v_pk_fma_f32 v[22:23], v[22:23], 0.5, v[20:21] op_sel_hi:[1,0,1] neg_lo:[1,0,0] neg_hi:[1,0,0]
	v_pk_fma_f32 v[20:21], v[48:49], 0.5, v[20:21] op_sel_hi:[1,0,1] neg_lo:[1,0,0] neg_hi:[1,0,0]
	v_pk_add_f32 v[48:49], v[18:19], v[56:57] neg_lo:[0,1] neg_hi:[0,1]
	v_pk_add_f32 v[16:17], v[16:17], v[50:51]
	v_pk_add_f32 v[58:59], v[50:51], v[56:57] neg_lo:[0,1] neg_hi:[0,1]
	v_pk_add_f32 v[50:51], v[50:51], v[54:55] neg_lo:[0,1] neg_hi:[0,1]
	v_pk_add_f32 v[48:49], v[52:53], v[48:49]
	v_pk_add_f32 v[52:53], v[56:57], v[18:19] neg_lo:[0,1] neg_hi:[0,1]
	v_pk_add_f32 v[54:55], v[54:55], v[18:19] neg_lo:[0,1] neg_hi:[0,1]
	v_pk_add_f32 v[16:17], v[16:17], v[56:57]
	v_pk_add_f32 v[50:51], v[50:51], v[52:53]
	v_pk_mul_f32 v[52:53], v[54:55], s[6:7] op_sel_hi:[1,0]
	v_pk_mul_f32 v[56:57], v[58:59], s[6:7] op_sel_hi:[1,0]
	;; [unrolled: 1-line block ×4, first 2 shown]
	v_pk_add_f32 v[16:17], v[16:17], v[18:19]
	v_pk_add_f32 v[18:19], v[22:23], v[52:53] op_sel:[0,1] op_sel_hi:[1,0]
	v_pk_add_f32 v[22:23], v[22:23], v[52:53] op_sel:[0,1] op_sel_hi:[1,0] neg_lo:[0,1] neg_hi:[0,1]
	v_pk_add_f32 v[52:53], v[20:21], v[56:57] op_sel:[0,1] op_sel_hi:[1,0] neg_lo:[0,1] neg_hi:[0,1]
	v_pk_add_f32 v[20:21], v[20:21], v[56:57] op_sel:[0,1] op_sel_hi:[1,0]
	v_pk_add_f32 v[22:23], v[22:23], v[58:59] op_sel:[0,1] op_sel_hi:[1,0] neg_lo:[0,1] neg_hi:[0,1]
	v_pk_add_f32 v[18:19], v[18:19], v[58:59] op_sel:[0,1] op_sel_hi:[1,0]
	;; [unrolled: 2-line block ×3, first 2 shown]
	v_mov_b32_e32 v55, v21
	v_mov_b32_e32 v54, v52
	v_mov_b32_e32 v21, v53
	v_mov_b32_e32 v52, v18
	v_mov_b32_e32 v53, v23
	v_mov_b32_e32 v23, v19
	v_pk_fma_f32 v[18:19], v[50:51], s[2:3], v[54:55] op_sel_hi:[1,0,1]
	v_pk_fma_f32 v[20:21], v[50:51], s[2:3], v[20:21] op_sel_hi:[1,0,1]
	;; [unrolled: 1-line block ×4, first 2 shown]
	ds_write2_b64 v47, v[16:17], v[50:51] offset1:25
	ds_write2_b64 v47, v[18:19], v[20:21] offset0:50 offset1:75
	ds_write_b64 v47, v[22:23] offset:800
	s_waitcnt lgkmcnt(0)
	s_barrier
	global_load_dwordx4 v[16:19], v60, s[10:11] offset:976
	global_load_dwordx4 v[20:23], v60, s[10:11] offset:960
	ds_read2_b64 v[50:53], v43 offset0:122 offset1:247
	s_waitcnt vmcnt(1) lgkmcnt(0)
	v_pk_mul_f32 v[54:55], v[52:53], v[16:17] op_sel:[0,1]
	s_waitcnt vmcnt(0)
	v_mov_b32_e32 v48, v23
	v_pk_fma_f32 v[56:57], v[52:53], v[16:17], v[54:55] op_sel:[0,0,1] op_sel_hi:[1,1,0] neg_lo:[0,0,1] neg_hi:[0,0,1]
	v_pk_fma_f32 v[58:59], v[52:53], v[16:17], v[54:55] op_sel:[0,0,1] op_sel_hi:[1,0,0]
	v_pk_mul_f32 v[52:53], v[50:51], v[48:49] op_sel_hi:[1,0]
	v_mov_b32_e32 v57, v59
	v_pk_fma_f32 v[60:61], v[50:51], v[22:23], v[52:53] op_sel:[0,0,1] op_sel_hi:[1,1,0] neg_lo:[0,0,1] neg_hi:[0,0,1]
	v_pk_fma_f32 v[50:51], v[50:51], v[22:23], v[52:53] op_sel:[0,0,1] op_sel_hi:[1,0,0]
	ds_read2_b64 v[52:55], v24 offset1:125
	v_mov_b32_e32 v50, v19
	v_mov_b32_e32 v61, v51
	s_waitcnt lgkmcnt(0)
	v_pk_mul_f32 v[62:63], v[54:55], v[20:21] op_sel:[0,1]
	s_nop 0
	v_pk_fma_f32 v[64:65], v[54:55], v[20:21], v[62:63] op_sel:[0,0,1] op_sel_hi:[1,1,0] neg_lo:[0,0,1] neg_hi:[0,0,1]
	v_pk_fma_f32 v[54:55], v[54:55], v[20:21], v[62:63] op_sel:[0,0,1] op_sel_hi:[1,0,0]
	s_nop 0
	v_mov_b32_e32 v65, v55
	ds_read_b64 v[54:55], v24 offset:4000
	v_pk_add_f32 v[66:67], v[64:65], v[60:61] neg_lo:[0,1] neg_hi:[0,1]
	s_waitcnt lgkmcnt(0)
	v_pk_mul_f32 v[58:59], v[54:55], v[50:51] op_sel_hi:[1,0]
	s_nop 0
	v_pk_fma_f32 v[62:63], v[54:55], v[18:19], v[58:59] op_sel:[0,0,1] op_sel_hi:[1,1,0] neg_lo:[0,0,1] neg_hi:[0,0,1]
	v_pk_fma_f32 v[54:55], v[54:55], v[18:19], v[58:59] op_sel:[0,0,1] op_sel_hi:[1,0,0]
	s_nop 0
	v_mov_b32_e32 v63, v55
	v_pk_add_f32 v[68:69], v[62:63], v[56:57] neg_lo:[0,1] neg_hi:[0,1]
	v_pk_add_f32 v[54:55], v[60:61], v[56:57]
	v_pk_add_f32 v[66:67], v[66:67], v[68:69]
	v_pk_add_f32 v[68:69], v[64:65], v[62:63] neg_lo:[0,1] neg_hi:[0,1]
	v_pk_fma_f32 v[54:55], v[54:55], 0.5, v[52:53] op_sel_hi:[1,0,1] neg_lo:[1,0,0] neg_hi:[1,0,0]
	v_pk_mul_f32 v[70:71], v[68:69], s[6:7] op_sel_hi:[1,0]
	v_pk_add_f32 v[58:59], v[64:65], v[62:63]
	v_pk_add_f32 v[72:73], v[54:55], v[70:71] op_sel:[0,1] op_sel_hi:[1,0]
	v_pk_add_f32 v[54:55], v[54:55], v[70:71] op_sel:[0,1] op_sel_hi:[1,0] neg_lo:[0,1] neg_hi:[0,1]
	v_pk_add_f32 v[70:71], v[60:61], v[56:57] neg_lo:[0,1] neg_hi:[0,1]
	v_pk_fma_f32 v[58:59], v[58:59], 0.5, v[52:53] op_sel_hi:[1,0,1] neg_lo:[1,0,0] neg_hi:[1,0,0]
	v_pk_add_f32 v[52:53], v[52:53], v[64:65]
	v_pk_mul_f32 v[74:75], v[70:71], s[12:13] op_sel_hi:[1,0]
	v_pk_add_f32 v[52:53], v[52:53], v[60:61]
	v_pk_add_f32 v[54:55], v[54:55], v[74:75] op_sel:[0,1] op_sel_hi:[1,0] neg_lo:[0,1] neg_hi:[0,1]
	v_pk_add_f32 v[72:73], v[72:73], v[74:75] op_sel:[0,1] op_sel_hi:[1,0]
	v_pk_add_f32 v[52:53], v[52:53], v[56:57]
	v_mov_b32_e32 v74, v72
	v_mov_b32_e32 v75, v55
	v_pk_add_f32 v[52:53], v[52:53], v[62:63]
	v_pk_fma_f32 v[74:75], v[66:67], s[2:3], v[74:75] op_sel_hi:[1,0,1]
	ds_write2_b64 v24, v[52:53], v[74:75] offset1:125
	v_pk_add_f32 v[52:53], v[60:61], v[64:65] neg_lo:[0,1] neg_hi:[0,1]
	v_pk_add_f32 v[56:57], v[56:57], v[62:63] neg_lo:[0,1] neg_hi:[0,1]
	s_movk_i32 s3, 0x1000
	v_pk_add_f32 v[52:53], v[52:53], v[56:57]
	v_pk_mul_f32 v[56:57], v[70:71], s[6:7] op_sel_hi:[1,0]
	v_mov_b32_e32 v55, v73
	v_pk_add_f32 v[60:61], v[58:59], v[56:57] op_sel:[0,1] op_sel_hi:[1,0] neg_lo:[0,1] neg_hi:[0,1]
	v_pk_add_f32 v[56:57], v[58:59], v[56:57] op_sel:[0,1] op_sel_hi:[1,0]
	v_pk_mul_f32 v[58:59], v[68:69], s[12:13] op_sel_hi:[1,0]
	v_pk_fma_f32 v[54:55], v[66:67], s[2:3], v[54:55] op_sel_hi:[1,0,1]
	v_pk_add_f32 v[56:57], v[56:57], v[58:59] op_sel:[0,1] op_sel_hi:[1,0] neg_lo:[0,1] neg_hi:[0,1]
	v_pk_add_f32 v[58:59], v[60:61], v[58:59] op_sel:[0,1] op_sel_hi:[1,0]
	v_mov_b32_e32 v61, v57
	v_mov_b32_e32 v60, v58
	;; [unrolled: 1-line block ×3, first 2 shown]
	v_pk_fma_f32 v[58:59], v[52:53], s[2:3], v[60:61] op_sel_hi:[1,0,1]
	v_pk_fma_f32 v[52:53], v[52:53], s[2:3], v[56:57] op_sel_hi:[1,0,1]
	v_lshl_add_u64 v[56:57], s[8:9], 0, v[24:25]
	v_add_co_u32_e32 v60, vcc, s3, v56
	ds_write2_b64 v43, v[58:59], v[52:53] offset0:122 offset1:247
	ds_write_b64 v24, v[54:55] offset:4000
	v_addc_co_u32_e32 v61, vcc, 0, v57, vcc
	s_waitcnt lgkmcnt(0)
	s_barrier
	global_load_dwordx2 v[58:59], v[60:61], off offset:904
	ds_read2_b64 v[52:55], v24 offset1:125
	s_mov_b64 s[8:9], 0x1388
	v_lshl_add_u64 v[56:57], v[56:57], 0, s[8:9]
	s_waitcnt vmcnt(0) lgkmcnt(0)
	v_mul_f32_e32 v25, v53, v59
	v_mul_f32_e32 v61, v52, v59
	v_fma_f32 v60, v52, v58, -v25
	v_fmac_f32_e32 v61, v53, v58
	global_load_dwordx2 v[52:53], v[56:57], off offset:1000
	global_load_dwordx2 v[58:59], v[56:57], off offset:2000
	;; [unrolled: 1-line block ×4, first 2 shown]
	s_waitcnt vmcnt(3)
	v_mul_f32_e32 v25, v55, v53
	v_mul_f32_e32 v57, v54, v53
	v_fma_f32 v56, v54, v52, -v25
	v_fmac_f32_e32 v57, v55, v52
	ds_write2_b64 v24, v[60:61], v[56:57] offset1:125
	ds_read2_b64 v[52:55], v43 offset0:122 offset1:247
	s_waitcnt vmcnt(2) lgkmcnt(0)
	v_mul_f32_e32 v25, v53, v59
	v_mul_f32_e32 v57, v52, v59
	v_fma_f32 v56, v52, v58, -v25
	v_fmac_f32_e32 v57, v53, v58
	s_waitcnt vmcnt(1)
	v_mul_f32_e32 v25, v55, v63
	v_mul_f32_e32 v53, v54, v63
	v_fma_f32 v52, v54, v62, -v25
	v_fmac_f32_e32 v53, v55, v62
	ds_read_b64 v[54:55], v24 offset:4000
	s_waitcnt vmcnt(0) lgkmcnt(0)
	v_mul_f32_e32 v25, v55, v65
	v_mul_f32_e32 v59, v54, v65
	v_fma_f32 v58, v54, v64, -v25
	v_fmac_f32_e32 v59, v55, v64
	ds_write2_b64 v43, v[56:57], v[52:53] offset0:122 offset1:247
	ds_write_b64 v24, v[58:59] offset:4000
	s_waitcnt lgkmcnt(0)
	s_barrier
	ds_read2_b64 v[52:55], v43 offset0:122 offset1:247
	ds_read2_b64 v[56:59], v24 offset1:125
	ds_read_b64 v[62:63], v24 offset:4000
	s_waitcnt lgkmcnt(0)
	s_barrier
	v_pk_add_f32 v[60:61], v[52:53], v[54:55]
	v_pk_add_f32 v[68:69], v[58:59], v[52:53] neg_lo:[0,1] neg_hi:[0,1]
	v_pk_add_f32 v[64:65], v[58:59], v[62:63]
	v_pk_fma_f32 v[60:61], v[60:61], 0.5, v[56:57] op_sel_hi:[1,0,1] neg_lo:[1,0,0] neg_hi:[1,0,0]
	v_pk_fma_f32 v[64:65], v[64:65], 0.5, v[56:57] op_sel_hi:[1,0,1] neg_lo:[1,0,0] neg_hi:[1,0,0]
	v_pk_add_f32 v[56:57], v[56:57], v[58:59]
	v_pk_add_f32 v[66:67], v[58:59], v[62:63] neg_lo:[0,1] neg_hi:[0,1]
	v_pk_add_f32 v[56:57], v[56:57], v[52:53]
	v_pk_add_f32 v[58:59], v[52:53], v[58:59] neg_lo:[0,1] neg_hi:[0,1]
	;; [unrolled: 2-line block ×3, first 2 shown]
	v_pk_add_f32 v[70:71], v[62:63], v[54:55] neg_lo:[0,1] neg_hi:[0,1]
	v_pk_add_f32 v[54:55], v[54:55], v[62:63] neg_lo:[0,1] neg_hi:[0,1]
	v_pk_add_f32 v[68:69], v[68:69], v[70:71]
	v_pk_add_f32 v[54:55], v[58:59], v[54:55]
	v_pk_mul_f32 v[58:59], v[66:67], s[6:7] op_sel_hi:[1,0]
	v_pk_add_f32 v[56:57], v[56:57], v[62:63]
	v_pk_add_f32 v[70:71], v[60:61], v[58:59] op_sel:[0,1] op_sel_hi:[1,0] neg_lo:[0,1] neg_hi:[0,1]
	v_pk_add_f32 v[58:59], v[60:61], v[58:59] op_sel:[0,1] op_sel_hi:[1,0]
	v_pk_mul_f32 v[60:61], v[52:53], s[6:7] op_sel_hi:[1,0]
	v_pk_mul_f32 v[52:53], v[52:53], s[12:13] op_sel_hi:[1,0]
	v_pk_add_f32 v[72:73], v[64:65], v[60:61] op_sel:[0,1] op_sel_hi:[1,0]
	v_pk_add_f32 v[60:61], v[64:65], v[60:61] op_sel:[0,1] op_sel_hi:[1,0] neg_lo:[0,1] neg_hi:[0,1]
	v_pk_mul_f32 v[62:63], v[66:67], s[12:13] op_sel_hi:[1,0]
	v_pk_add_f32 v[58:59], v[58:59], v[52:53] op_sel:[0,1] op_sel_hi:[1,0]
	v_pk_add_f32 v[52:53], v[70:71], v[52:53] op_sel:[0,1] op_sel_hi:[1,0] neg_lo:[0,1] neg_hi:[0,1]
	v_pk_add_f32 v[60:61], v[60:61], v[62:63] op_sel:[0,1] op_sel_hi:[1,0]
	v_pk_add_f32 v[62:63], v[72:73], v[62:63] op_sel:[0,1] op_sel_hi:[1,0] neg_lo:[0,1] neg_hi:[0,1]
	v_mov_b32_e32 v65, v61
	v_mov_b32_e32 v64, v62
	;; [unrolled: 1-line block ×6, first 2 shown]
	v_pk_fma_f32 v[52:53], v[54:55], s[2:3], v[64:65] op_sel_hi:[1,0,1]
	v_pk_fma_f32 v[54:55], v[54:55], s[2:3], v[60:61] op_sel_hi:[1,0,1]
	v_pk_fma_f32 v[60:61], v[68:69], s[2:3], v[62:63] op_sel_hi:[1,0,1]
	v_pk_fma_f32 v[58:59], v[68:69], s[2:3], v[58:59] op_sel_hi:[1,0,1]
	ds_write2_b64 v45, v[56:57], v[60:61] offset1:1
	ds_write2_b64 v45, v[52:53], v[54:55] offset0:2 offset1:3
	ds_write_b64 v45, v[58:59] offset:32
	s_waitcnt lgkmcnt(0)
	s_barrier
	ds_read_b64 v[56:57], v24 offset:4000
	ds_read2_b64 v[52:55], v43 offset0:122 offset1:247
	s_waitcnt lgkmcnt(1)
	v_pk_mul_f32 v[58:59], v[42:43], v[56:57] op_sel_hi:[0,1]
	s_waitcnt lgkmcnt(0)
	v_pk_mul_f32 v[60:61], v[4:5], v[54:55] op_sel:[1,0]
	v_pk_mul_f32 v[62:63], v[40:41], v[52:53] op_sel_hi:[0,1]
	v_pk_fma_f32 v[64:65], v[6:7], v[56:57], v[58:59] op_sel:[0,0,1] op_sel_hi:[1,1,0]
	v_pk_fma_f32 v[6:7], v[6:7], v[56:57], v[58:59] op_sel:[0,0,1] op_sel_hi:[0,1,0] neg_lo:[0,0,1] neg_hi:[0,0,1]
	v_pk_fma_f32 v[56:57], v[4:5], v[54:55], v[60:61] op_sel:[0,0,1] op_sel_hi:[1,1,0]
	v_pk_fma_f32 v[54:55], v[4:5], v[54:55], v[60:61] op_sel:[0,0,1] op_sel_hi:[0,1,0] neg_lo:[0,0,1] neg_hi:[0,0,1]
	v_pk_fma_f32 v[58:59], v[2:3], v[52:53], v[62:63] op_sel:[0,0,1] op_sel_hi:[1,1,0]
	v_pk_fma_f32 v[52:53], v[2:3], v[52:53], v[62:63] op_sel:[0,0,1] op_sel_hi:[0,1,0] neg_lo:[0,0,1] neg_hi:[0,0,1]
	ds_read2_b64 v[2:5], v24 offset1:125
	v_mov_b32_e32 v59, v53
	v_mov_b32_e32 v57, v55
	;; [unrolled: 1-line block ×3, first 2 shown]
	v_pk_add_f32 v[54:55], v[64:65], v[56:57] neg_lo:[0,1] neg_hi:[0,1]
	s_waitcnt lgkmcnt(0)
	v_pk_mul_f32 v[60:61], v[0:1], v[4:5] op_sel:[1,0]
	s_nop 0
	v_pk_fma_f32 v[62:63], v[0:1], v[4:5], v[60:61] op_sel:[0,0,1] op_sel_hi:[1,1,0]
	v_pk_fma_f32 v[0:1], v[0:1], v[4:5], v[60:61] op_sel:[0,0,1] op_sel_hi:[0,1,0] neg_lo:[0,0,1] neg_hi:[0,0,1]
	v_mov_b32_e32 v63, v1
	v_pk_add_f32 v[0:1], v[58:59], v[56:57]
	v_pk_add_f32 v[4:5], v[62:63], v[64:65]
	;; [unrolled: 1-line block ×3, first 2 shown]
	v_pk_add_f32 v[52:53], v[62:63], v[58:59] neg_lo:[0,1] neg_hi:[0,1]
	v_pk_fma_f32 v[0:1], v[0:1], 0.5, v[2:3] op_sel_hi:[1,0,1] neg_lo:[1,0,0] neg_hi:[1,0,0]
	v_pk_fma_f32 v[2:3], v[4:5], 0.5, v[2:3] op_sel_hi:[1,0,1] neg_lo:[1,0,0] neg_hi:[1,0,0]
	v_pk_add_f32 v[4:5], v[62:63], v[64:65] neg_lo:[0,1] neg_hi:[0,1]
	v_pk_add_f32 v[60:61], v[58:59], v[56:57] neg_lo:[0,1] neg_hi:[0,1]
	v_pk_add_f32 v[62:63], v[58:59], v[62:63] neg_lo:[0,1] neg_hi:[0,1]
	v_pk_add_f32 v[52:53], v[52:53], v[54:55]
	v_pk_add_f32 v[54:55], v[56:57], v[64:65] neg_lo:[0,1] neg_hi:[0,1]
	v_pk_add_f32 v[6:7], v[6:7], v[58:59]
	v_pk_mul_f32 v[58:59], v[4:5], s[6:7] op_sel_hi:[1,0]
	v_pk_add_f32 v[54:55], v[62:63], v[54:55]
	v_pk_add_f32 v[62:63], v[0:1], v[58:59] op_sel:[0,1] op_sel_hi:[1,0] neg_lo:[0,1] neg_hi:[0,1]
	v_pk_add_f32 v[0:1], v[0:1], v[58:59] op_sel:[0,1] op_sel_hi:[1,0]
	v_pk_mul_f32 v[58:59], v[60:61], s[12:13] op_sel_hi:[1,0]
	v_pk_add_f32 v[6:7], v[6:7], v[56:57]
	v_pk_add_f32 v[0:1], v[0:1], v[58:59] op_sel:[0,1] op_sel_hi:[1,0]
	v_pk_add_f32 v[56:57], v[62:63], v[58:59] op_sel:[0,1] op_sel_hi:[1,0] neg_lo:[0,1] neg_hi:[0,1]
	v_mov_b32_e32 v59, v1
	v_mov_b32_e32 v58, v56
	v_pk_mul_f32 v[60:61], v[60:61], s[6:7] op_sel_hi:[1,0]
	v_pk_add_f32 v[6:7], v[6:7], v[64:65]
	v_pk_fma_f32 v[58:59], v[52:53], s[2:3], v[58:59] op_sel_hi:[1,0,1]
	s_barrier
	ds_write2_b64 v27, v[6:7], v[58:59] offset1:5
	v_pk_add_f32 v[6:7], v[2:3], v[60:61] op_sel:[0,1] op_sel_hi:[1,0]
	v_pk_add_f32 v[2:3], v[2:3], v[60:61] op_sel:[0,1] op_sel_hi:[1,0] neg_lo:[0,1] neg_hi:[0,1]
	v_pk_mul_f32 v[4:5], v[4:5], s[12:13] op_sel_hi:[1,0]
	v_mov_b32_e32 v1, v57
	v_pk_add_f32 v[2:3], v[2:3], v[4:5] op_sel:[0,1] op_sel_hi:[1,0]
	v_pk_add_f32 v[4:5], v[6:7], v[4:5] op_sel:[0,1] op_sel_hi:[1,0] neg_lo:[0,1] neg_hi:[0,1]
	v_mov_b32_e32 v7, v3
	v_mov_b32_e32 v6, v4
	;; [unrolled: 1-line block ×3, first 2 shown]
	v_pk_fma_f32 v[6:7], v[54:55], s[2:3], v[6:7] op_sel_hi:[1,0,1]
	v_pk_fma_f32 v[2:3], v[54:55], s[2:3], v[2:3] op_sel_hi:[1,0,1]
	v_pk_fma_f32 v[0:1], v[52:53], s[2:3], v[0:1] op_sel_hi:[1,0,1]
	ds_write2_b64 v27, v[6:7], v[2:3] offset0:10 offset1:15
	ds_write_b64 v27, v[0:1] offset:160
	s_waitcnt lgkmcnt(0)
	s_barrier
	ds_read2_b64 v[0:3], v24 offset1:125
	ds_read2_b64 v[4:7], v43 offset0:122 offset1:247
	ds_read_b64 v[52:53], v24 offset:4000
	s_waitcnt lgkmcnt(0)
	s_barrier
	v_pk_mul_f32 v[54:55], v[12:13], v[2:3] op_sel:[1,0]
	s_nop 0
	v_pk_fma_f32 v[56:57], v[12:13], v[2:3], v[54:55] op_sel:[0,0,1] op_sel_hi:[1,1,0]
	v_pk_fma_f32 v[2:3], v[12:13], v[2:3], v[54:55] op_sel:[0,0,1] op_sel_hi:[0,1,0] neg_lo:[0,0,1] neg_hi:[0,0,1]
	v_mov_b32_e32 v57, v3
	v_pk_mul_f32 v[2:3], v[46:47], v[4:5] op_sel_hi:[0,1]
	v_pk_fma_f32 v[12:13], v[14:15], v[4:5], v[2:3] op_sel:[0,0,1] op_sel_hi:[1,1,0]
	v_pk_fma_f32 v[2:3], v[14:15], v[4:5], v[2:3] op_sel:[0,0,1] op_sel_hi:[0,1,0] neg_lo:[0,0,1] neg_hi:[0,0,1]
	v_mov_b32_e32 v13, v3
	v_pk_mul_f32 v[2:3], v[8:9], v[6:7] op_sel:[1,0]
	v_pk_add_f32 v[54:55], v[56:57], v[12:13] neg_lo:[0,1] neg_hi:[0,1]
	v_pk_fma_f32 v[4:5], v[8:9], v[6:7], v[2:3] op_sel:[0,0,1] op_sel_hi:[1,1,0]
	v_pk_fma_f32 v[2:3], v[8:9], v[6:7], v[2:3] op_sel:[0,0,1] op_sel_hi:[0,1,0] neg_lo:[0,0,1] neg_hi:[0,0,1]
	v_mov_b32_e32 v5, v3
	v_pk_mul_f32 v[2:3], v[44:45], v[52:53] op_sel_hi:[0,1]
	v_pk_fma_f32 v[6:7], v[10:11], v[52:53], v[2:3] op_sel:[0,0,1] op_sel_hi:[1,1,0]
	v_pk_fma_f32 v[2:3], v[10:11], v[52:53], v[2:3] op_sel:[0,0,1] op_sel_hi:[0,1,0] neg_lo:[0,0,1] neg_hi:[0,0,1]
	v_mov_b32_e32 v7, v3
	v_pk_add_f32 v[8:9], v[12:13], v[4:5]
	v_pk_add_f32 v[10:11], v[56:57], v[6:7] neg_lo:[0,1] neg_hi:[0,1]
	v_pk_fma_f32 v[8:9], v[8:9], 0.5, v[0:1] op_sel_hi:[1,0,1] neg_lo:[1,0,0] neg_hi:[1,0,0]
	v_pk_mul_f32 v[14:15], v[10:11], s[6:7] op_sel_hi:[1,0]
	v_pk_add_f32 v[44:45], v[12:13], v[4:5] neg_lo:[0,1] neg_hi:[0,1]
	v_pk_add_f32 v[58:59], v[6:7], v[4:5] neg_lo:[0,1] neg_hi:[0,1]
	v_pk_add_f32 v[2:3], v[0:1], v[56:57]
	v_pk_mul_f32 v[52:53], v[44:45], s[12:13] op_sel_hi:[1,0]
	v_pk_add_f32 v[54:55], v[54:55], v[58:59]
	v_pk_add_f32 v[58:59], v[8:9], v[14:15] op_sel:[0,1] op_sel_hi:[1,0] neg_lo:[0,1] neg_hi:[0,1]
	v_pk_add_f32 v[8:9], v[8:9], v[14:15] op_sel:[0,1] op_sel_hi:[1,0]
	v_pk_add_f32 v[2:3], v[2:3], v[12:13]
	v_pk_add_f32 v[8:9], v[8:9], v[52:53] op_sel:[0,1] op_sel_hi:[1,0]
	v_pk_add_f32 v[14:15], v[58:59], v[52:53] op_sel:[0,1] op_sel_hi:[1,0] neg_lo:[0,1] neg_hi:[0,1]
	v_pk_add_f32 v[2:3], v[2:3], v[4:5]
	v_mov_b32_e32 v52, v14
	v_mov_b32_e32 v53, v9
	v_pk_add_f32 v[2:3], v[2:3], v[6:7]
	v_pk_fma_f32 v[52:53], v[54:55], s[2:3], v[52:53] op_sel_hi:[1,0,1]
	ds_write2_b64 v47, v[2:3], v[52:53] offset1:25
	v_pk_add_f32 v[2:3], v[56:57], v[6:7]
	v_pk_add_f32 v[4:5], v[4:5], v[6:7] neg_lo:[0,1] neg_hi:[0,1]
	v_pk_fma_f32 v[0:1], v[2:3], 0.5, v[0:1] op_sel_hi:[1,0,1] neg_lo:[1,0,0] neg_hi:[1,0,0]
	v_pk_add_f32 v[2:3], v[12:13], v[56:57] neg_lo:[0,1] neg_hi:[0,1]
	v_pk_mul_f32 v[6:7], v[10:11], s[12:13] op_sel_hi:[1,0]
	v_pk_add_f32 v[2:3], v[2:3], v[4:5]
	v_pk_mul_f32 v[4:5], v[44:45], s[6:7] op_sel_hi:[1,0]
	v_mov_b32_e32 v9, v15
	v_pk_add_f32 v[10:11], v[0:1], v[4:5] op_sel:[0,1] op_sel_hi:[1,0]
	v_pk_add_f32 v[0:1], v[0:1], v[4:5] op_sel:[0,1] op_sel_hi:[1,0] neg_lo:[0,1] neg_hi:[0,1]
	v_pk_add_f32 v[4:5], v[10:11], v[6:7] op_sel:[0,1] op_sel_hi:[1,0] neg_lo:[0,1] neg_hi:[0,1]
	v_pk_add_f32 v[0:1], v[0:1], v[6:7] op_sel:[0,1] op_sel_hi:[1,0]
	v_mov_b32_e32 v6, v4
	v_mov_b32_e32 v7, v1
	;; [unrolled: 1-line block ×3, first 2 shown]
	v_pk_fma_f32 v[6:7], v[2:3], s[2:3], v[6:7] op_sel_hi:[1,0,1]
	v_pk_fma_f32 v[0:1], v[2:3], s[2:3], v[0:1] op_sel_hi:[1,0,1]
	ds_write2_b64 v47, v[6:7], v[0:1] offset0:50 offset1:75
	v_pk_fma_f32 v[0:1], v[54:55], s[2:3], v[8:9] op_sel_hi:[1,0,1]
	ds_write_b64 v47, v[0:1] offset:800
	s_waitcnt lgkmcnt(0)
	s_barrier
	ds_read2_b64 v[0:3], v24 offset1:125
	ds_read2_b64 v[4:7], v43 offset0:122 offset1:247
	ds_read_b64 v[8:9], v24 offset:4000
	v_mov_b32_e32 v27, v34
	s_waitcnt lgkmcnt(2)
	v_pk_mul_f32 v[10:11], v[20:21], v[2:3] op_sel:[1,0]
	s_nop 0
	v_pk_fma_f32 v[12:13], v[20:21], v[2:3], v[10:11] op_sel:[0,0,1] op_sel_hi:[1,1,0]
	v_pk_fma_f32 v[2:3], v[20:21], v[2:3], v[10:11] op_sel:[0,0,1] op_sel_hi:[0,1,0] neg_lo:[0,0,1] neg_hi:[0,0,1]
	v_mov_b32_e32 v13, v3
	s_waitcnt lgkmcnt(1)
	v_pk_mul_f32 v[2:3], v[48:49], v[4:5] op_sel_hi:[0,1]
	v_pk_fma_f32 v[10:11], v[22:23], v[4:5], v[2:3] op_sel:[0,0,1] op_sel_hi:[1,1,0]
	v_pk_fma_f32 v[2:3], v[22:23], v[4:5], v[2:3] op_sel:[0,0,1] op_sel_hi:[0,1,0] neg_lo:[0,0,1] neg_hi:[0,0,1]
	v_mov_b32_e32 v11, v3
	v_pk_mul_f32 v[2:3], v[16:17], v[6:7] op_sel:[1,0]
	v_pk_add_f32 v[22:23], v[12:13], v[10:11] neg_lo:[0,1] neg_hi:[0,1]
	v_pk_fma_f32 v[4:5], v[16:17], v[6:7], v[2:3] op_sel:[0,0,1] op_sel_hi:[1,1,0]
	v_pk_fma_f32 v[2:3], v[16:17], v[6:7], v[2:3] op_sel:[0,0,1] op_sel_hi:[0,1,0] neg_lo:[0,0,1] neg_hi:[0,0,1]
	v_mov_b32_e32 v5, v3
	s_waitcnt lgkmcnt(0)
	v_pk_mul_f32 v[2:3], v[50:51], v[8:9] op_sel_hi:[0,1]
	v_pk_fma_f32 v[6:7], v[18:19], v[8:9], v[2:3] op_sel:[0,0,1] op_sel_hi:[1,1,0]
	v_pk_fma_f32 v[2:3], v[18:19], v[8:9], v[2:3] op_sel:[0,0,1] op_sel_hi:[0,1,0] neg_lo:[0,0,1] neg_hi:[0,0,1]
	v_mov_b32_e32 v7, v3
	v_pk_add_f32 v[8:9], v[10:11], v[4:5]
	v_pk_add_f32 v[14:15], v[12:13], v[6:7] neg_lo:[0,1] neg_hi:[0,1]
	v_pk_fma_f32 v[8:9], v[8:9], 0.5, v[0:1] op_sel_hi:[1,0,1] neg_lo:[1,0,0] neg_hi:[1,0,0]
	v_pk_mul_f32 v[16:17], v[14:15], s[6:7] op_sel_hi:[1,0]
	v_pk_add_f32 v[18:19], v[10:11], v[4:5] neg_lo:[0,1] neg_hi:[0,1]
	v_pk_add_f32 v[44:45], v[6:7], v[4:5] neg_lo:[0,1] neg_hi:[0,1]
	v_pk_add_f32 v[2:3], v[0:1], v[12:13]
	v_pk_mul_f32 v[20:21], v[18:19], s[12:13] op_sel_hi:[1,0]
	v_pk_add_f32 v[22:23], v[22:23], v[44:45]
	v_pk_add_f32 v[44:45], v[8:9], v[16:17] op_sel:[0,1] op_sel_hi:[1,0] neg_lo:[0,1] neg_hi:[0,1]
	v_pk_add_f32 v[8:9], v[8:9], v[16:17] op_sel:[0,1] op_sel_hi:[1,0]
	v_pk_add_f32 v[2:3], v[2:3], v[10:11]
	v_pk_add_f32 v[8:9], v[8:9], v[20:21] op_sel:[0,1] op_sel_hi:[1,0]
	v_pk_add_f32 v[16:17], v[44:45], v[20:21] op_sel:[0,1] op_sel_hi:[1,0] neg_lo:[0,1] neg_hi:[0,1]
	v_pk_add_f32 v[2:3], v[2:3], v[4:5]
	v_mov_b32_e32 v20, v16
	v_mov_b32_e32 v21, v9
	v_pk_add_f32 v[2:3], v[2:3], v[6:7]
	v_pk_fma_f32 v[20:21], v[22:23], s[2:3], v[20:21] op_sel_hi:[1,0,1]
	ds_write2_b64 v24, v[2:3], v[20:21] offset1:125
	v_pk_add_f32 v[2:3], v[12:13], v[6:7]
	v_pk_add_f32 v[4:5], v[4:5], v[6:7] neg_lo:[0,1] neg_hi:[0,1]
	v_pk_fma_f32 v[0:1], v[2:3], 0.5, v[0:1] op_sel_hi:[1,0,1] neg_lo:[1,0,0] neg_hi:[1,0,0]
	v_pk_add_f32 v[2:3], v[10:11], v[12:13] neg_lo:[0,1] neg_hi:[0,1]
	v_pk_mul_f32 v[6:7], v[14:15], s[12:13] op_sel_hi:[1,0]
	v_pk_add_f32 v[2:3], v[2:3], v[4:5]
	v_pk_mul_f32 v[4:5], v[18:19], s[6:7] op_sel_hi:[1,0]
	v_mov_b32_e32 v9, v17
	v_pk_add_f32 v[10:11], v[0:1], v[4:5] op_sel:[0,1] op_sel_hi:[1,0]
	v_pk_add_f32 v[0:1], v[0:1], v[4:5] op_sel:[0,1] op_sel_hi:[1,0] neg_lo:[0,1] neg_hi:[0,1]
	v_pk_add_f32 v[4:5], v[10:11], v[6:7] op_sel:[0,1] op_sel_hi:[1,0] neg_lo:[0,1] neg_hi:[0,1]
	v_pk_add_f32 v[0:1], v[0:1], v[6:7] op_sel:[0,1] op_sel_hi:[1,0]
	v_mov_b32_e32 v6, v4
	v_mov_b32_e32 v7, v1
	;; [unrolled: 1-line block ×3, first 2 shown]
	v_pk_fma_f32 v[6:7], v[2:3], s[2:3], v[6:7] op_sel_hi:[1,0,1]
	v_pk_fma_f32 v[0:1], v[2:3], s[2:3], v[0:1] op_sel_hi:[1,0,1]
	ds_write2_b64 v43, v[6:7], v[0:1] offset0:122 offset1:247
	v_pk_fma_f32 v[0:1], v[22:23], s[2:3], v[8:9] op_sel_hi:[1,0,1]
	ds_write_b64 v24, v[0:1] offset:4000
	s_waitcnt lgkmcnt(0)
	s_barrier
	ds_read2_b64 v[0:3], v24 offset1:125
	v_mov_b32_e32 v4, s0
	v_mov_b32_e32 v5, s1
	s_mov_b32 s0, 0xeb1c432d
	s_mov_b32 s1, 0x3f5a36e2
	s_waitcnt lgkmcnt(0)
	v_mul_f32_e32 v6, v39, v1
	v_fmac_f32_e32 v6, v38, v0
	v_mul_f32_e32 v0, v39, v0
	v_fma_f32 v0, v38, v1, -v0
	v_cvt_f64_f32_e32 v[6:7], v6
	v_cvt_f64_f32_e32 v[0:1], v0
	v_mul_f64 v[6:7], v[6:7], s[0:1]
	v_mul_f64 v[0:1], v[0:1], s[0:1]
	v_cvt_f32_f64_e32 v6, v[6:7]
	v_cvt_f32_f64_e32 v7, v[0:1]
	v_mad_u64_u32 v[0:1], s[2:3], s4, v41, 0
	v_mov_b32_e32 v8, v1
	v_mad_u64_u32 v[8:9], s[2:3], s5, v41, v[8:9]
	v_mov_b32_e32 v1, v8
	v_lshl_add_u64 v[4:5], v[26:27], 3, v[4:5]
	v_lshl_add_u64 v[4:5], v[0:1], 3, v[4:5]
	v_mul_f32_e32 v0, v37, v3
	v_fmac_f32_e32 v0, v36, v2
	v_cvt_f64_f32_e32 v[0:1], v0
	v_mul_f64 v[0:1], v[0:1], s[0:1]
	global_store_dwordx2 v[4:5], v[6:7], off
	v_cvt_f32_f64_e32 v6, v[0:1]
	v_mul_f32_e32 v0, v37, v2
	v_fma_f32 v0, v36, v3, -v0
	v_cvt_f64_f32_e32 v[0:1], v0
	v_mul_f64 v[0:1], v[0:1], s[0:1]
	v_cvt_f32_f64_e32 v7, v[0:1]
	ds_read2_b64 v[0:3], v43 offset0:122 offset1:247
	v_mad_u64_u32 v[4:5], s[2:3], s4, v35, v[4:5]
	s_mulk_i32 s5, 0x3e8
	v_add_u32_e32 v5, s5, v5
	global_store_dwordx2 v[4:5], v[6:7], off
	s_waitcnt lgkmcnt(0)
	v_mul_f32_e32 v6, v33, v1
	v_fmac_f32_e32 v6, v32, v0
	v_mul_f32_e32 v0, v33, v0
	v_fma_f32 v0, v32, v1, -v0
	v_cvt_f64_f32_e32 v[6:7], v6
	v_cvt_f64_f32_e32 v[0:1], v0
	v_mul_f64 v[6:7], v[6:7], s[0:1]
	v_mul_f64 v[0:1], v[0:1], s[0:1]
	v_cvt_f32_f64_e32 v6, v[6:7]
	v_cvt_f32_f64_e32 v7, v[0:1]
	v_mad_u64_u32 v[0:1], s[2:3], s4, v35, v[4:5]
	v_mul_f32_e32 v4, v31, v3
	v_fmac_f32_e32 v4, v30, v2
	v_mul_f32_e32 v2, v31, v2
	v_fma_f32 v2, v30, v3, -v2
	v_cvt_f64_f32_e32 v[4:5], v4
	v_cvt_f64_f32_e32 v[2:3], v2
	v_mul_f64 v[4:5], v[4:5], s[0:1]
	v_mul_f64 v[2:3], v[2:3], s[0:1]
	v_cvt_f32_f64_e32 v4, v[4:5]
	v_cvt_f32_f64_e32 v5, v[2:3]
	ds_read_b64 v[2:3], v24 offset:4000
	v_add_u32_e32 v1, s5, v1
	global_store_dwordx2 v[0:1], v[6:7], off
	v_mad_u64_u32 v[0:1], s[2:3], s4, v35, v[0:1]
	v_add_u32_e32 v1, s5, v1
	global_store_dwordx2 v[0:1], v[4:5], off
	s_waitcnt lgkmcnt(0)
	v_mul_f32_e32 v4, v29, v3
	v_fmac_f32_e32 v4, v28, v2
	v_mul_f32_e32 v2, v29, v2
	v_fma_f32 v2, v28, v3, -v2
	v_cvt_f64_f32_e32 v[4:5], v4
	v_cvt_f64_f32_e32 v[2:3], v2
	v_mul_f64 v[4:5], v[4:5], s[0:1]
	v_mul_f64 v[2:3], v[2:3], s[0:1]
	v_mad_u64_u32 v[0:1], s[0:1], s4, v35, v[0:1]
	v_cvt_f32_f64_e32 v4, v[4:5]
	v_cvt_f32_f64_e32 v5, v[2:3]
	v_add_u32_e32 v1, s5, v1
	global_store_dwordx2 v[0:1], v[4:5], off
.LBB0_2:
	s_endpgm
	.section	.rodata,"a",@progbits
	.p2align	6, 0x0
	.amdhsa_kernel bluestein_single_fwd_len625_dim1_sp_op_CI_CI
		.amdhsa_group_segment_fixed_size 5000
		.amdhsa_private_segment_fixed_size 0
		.amdhsa_kernarg_size 104
		.amdhsa_user_sgpr_count 2
		.amdhsa_user_sgpr_dispatch_ptr 0
		.amdhsa_user_sgpr_queue_ptr 0
		.amdhsa_user_sgpr_kernarg_segment_ptr 1
		.amdhsa_user_sgpr_dispatch_id 0
		.amdhsa_user_sgpr_kernarg_preload_length 0
		.amdhsa_user_sgpr_kernarg_preload_offset 0
		.amdhsa_user_sgpr_private_segment_size 0
		.amdhsa_uses_dynamic_stack 0
		.amdhsa_enable_private_segment 0
		.amdhsa_system_sgpr_workgroup_id_x 1
		.amdhsa_system_sgpr_workgroup_id_y 0
		.amdhsa_system_sgpr_workgroup_id_z 0
		.amdhsa_system_sgpr_workgroup_info 0
		.amdhsa_system_vgpr_workitem_id 0
		.amdhsa_next_free_vgpr 76
		.amdhsa_next_free_sgpr 20
		.amdhsa_accum_offset 76
		.amdhsa_reserve_vcc 1
		.amdhsa_float_round_mode_32 0
		.amdhsa_float_round_mode_16_64 0
		.amdhsa_float_denorm_mode_32 3
		.amdhsa_float_denorm_mode_16_64 3
		.amdhsa_dx10_clamp 1
		.amdhsa_ieee_mode 1
		.amdhsa_fp16_overflow 0
		.amdhsa_tg_split 0
		.amdhsa_exception_fp_ieee_invalid_op 0
		.amdhsa_exception_fp_denorm_src 0
		.amdhsa_exception_fp_ieee_div_zero 0
		.amdhsa_exception_fp_ieee_overflow 0
		.amdhsa_exception_fp_ieee_underflow 0
		.amdhsa_exception_fp_ieee_inexact 0
		.amdhsa_exception_int_div_zero 0
	.end_amdhsa_kernel
	.text
.Lfunc_end0:
	.size	bluestein_single_fwd_len625_dim1_sp_op_CI_CI, .Lfunc_end0-bluestein_single_fwd_len625_dim1_sp_op_CI_CI
                                        ; -- End function
	.section	.AMDGPU.csdata,"",@progbits
; Kernel info:
; codeLenInByte = 4924
; NumSgprs: 26
; NumVgprs: 76
; NumAgprs: 0
; TotalNumVgprs: 76
; ScratchSize: 0
; MemoryBound: 0
; FloatMode: 240
; IeeeMode: 1
; LDSByteSize: 5000 bytes/workgroup (compile time only)
; SGPRBlocks: 3
; VGPRBlocks: 9
; NumSGPRsForWavesPerEU: 26
; NumVGPRsForWavesPerEU: 76
; AccumOffset: 76
; Occupancy: 6
; WaveLimiterHint : 1
; COMPUTE_PGM_RSRC2:SCRATCH_EN: 0
; COMPUTE_PGM_RSRC2:USER_SGPR: 2
; COMPUTE_PGM_RSRC2:TRAP_HANDLER: 0
; COMPUTE_PGM_RSRC2:TGID_X_EN: 1
; COMPUTE_PGM_RSRC2:TGID_Y_EN: 0
; COMPUTE_PGM_RSRC2:TGID_Z_EN: 0
; COMPUTE_PGM_RSRC2:TIDIG_COMP_CNT: 0
; COMPUTE_PGM_RSRC3_GFX90A:ACCUM_OFFSET: 18
; COMPUTE_PGM_RSRC3_GFX90A:TG_SPLIT: 0
	.text
	.p2alignl 6, 3212836864
	.fill 256, 4, 3212836864
	.type	__hip_cuid_cc27e16be598c560,@object ; @__hip_cuid_cc27e16be598c560
	.section	.bss,"aw",@nobits
	.globl	__hip_cuid_cc27e16be598c560
__hip_cuid_cc27e16be598c560:
	.byte	0                               ; 0x0
	.size	__hip_cuid_cc27e16be598c560, 1

	.ident	"AMD clang version 19.0.0git (https://github.com/RadeonOpenCompute/llvm-project roc-6.4.0 25133 c7fe45cf4b819c5991fe208aaa96edf142730f1d)"
	.section	".note.GNU-stack","",@progbits
	.addrsig
	.addrsig_sym __hip_cuid_cc27e16be598c560
	.amdgpu_metadata
---
amdhsa.kernels:
  - .agpr_count:     0
    .args:
      - .actual_access:  read_only
        .address_space:  global
        .offset:         0
        .size:           8
        .value_kind:     global_buffer
      - .actual_access:  read_only
        .address_space:  global
        .offset:         8
        .size:           8
        .value_kind:     global_buffer
      - .actual_access:  read_only
        .address_space:  global
        .offset:         16
        .size:           8
        .value_kind:     global_buffer
      - .actual_access:  read_only
        .address_space:  global
        .offset:         24
        .size:           8
        .value_kind:     global_buffer
      - .actual_access:  read_only
        .address_space:  global
        .offset:         32
        .size:           8
        .value_kind:     global_buffer
      - .offset:         40
        .size:           8
        .value_kind:     by_value
      - .address_space:  global
        .offset:         48
        .size:           8
        .value_kind:     global_buffer
      - .address_space:  global
        .offset:         56
        .size:           8
        .value_kind:     global_buffer
      - .address_space:  global
        .offset:         64
        .size:           8
        .value_kind:     global_buffer
      - .address_space:  global
        .offset:         72
        .size:           8
        .value_kind:     global_buffer
      - .offset:         80
        .size:           4
        .value_kind:     by_value
      - .address_space:  global
        .offset:         88
        .size:           8
        .value_kind:     global_buffer
      - .address_space:  global
        .offset:         96
        .size:           8
        .value_kind:     global_buffer
    .group_segment_fixed_size: 5000
    .kernarg_segment_align: 8
    .kernarg_segment_size: 104
    .language:       OpenCL C
    .language_version:
      - 2
      - 0
    .max_flat_workgroup_size: 125
    .name:           bluestein_single_fwd_len625_dim1_sp_op_CI_CI
    .private_segment_fixed_size: 0
    .sgpr_count:     26
    .sgpr_spill_count: 0
    .symbol:         bluestein_single_fwd_len625_dim1_sp_op_CI_CI.kd
    .uniform_work_group_size: 1
    .uses_dynamic_stack: false
    .vgpr_count:     76
    .vgpr_spill_count: 0
    .wavefront_size: 64
amdhsa.target:   amdgcn-amd-amdhsa--gfx950
amdhsa.version:
  - 1
  - 2
...

	.end_amdgpu_metadata
